;; amdgpu-corpus repo=ROCm/rocFFT kind=compiled arch=gfx1201 opt=O3
	.text
	.amdgcn_target "amdgcn-amd-amdhsa--gfx1201"
	.amdhsa_code_object_version 6
	.protected	bluestein_single_fwd_len512_dim1_sp_op_CI_CI ; -- Begin function bluestein_single_fwd_len512_dim1_sp_op_CI_CI
	.globl	bluestein_single_fwd_len512_dim1_sp_op_CI_CI
	.p2align	8
	.type	bluestein_single_fwd_len512_dim1_sp_op_CI_CI,@function
bluestein_single_fwd_len512_dim1_sp_op_CI_CI: ; @bluestein_single_fwd_len512_dim1_sp_op_CI_CI
; %bb.0:
	s_load_b128 s[16:19], s[0:1], 0x28
	s_mov_b32 s2, ttmp9
	s_mov_b32 s3, 0
	s_mov_b32 s5, exec_lo
	s_wait_kmcnt 0x0
	v_cmpx_lt_u64_e64 s[2:3], s[16:17]
	s_cbranch_execz .LBB0_2
; %bb.1:
	s_clause 0x1
	s_load_b128 s[4:7], s[0:1], 0x18
	s_load_b128 s[8:11], s[0:1], 0x0
	v_dual_mov_b32 v42, s3 :: v_dual_mov_b32 v41, s2
	v_lshlrev_b32_e32 v46, 3, v0
	s_wait_kmcnt 0x0
	s_load_b128 s[12:15], s[4:5], 0x0
	s_clause 0x5
	global_load_b64 v[25:26], v46, s[8:9]
	global_load_b64 v[27:28], v46, s[8:9] offset:512
	global_load_b64 v[29:30], v46, s[8:9] offset:1024
	;; [unrolled: 1-line block ×5, first 2 shown]
	s_wait_kmcnt 0x0
	v_mad_co_u64_u32 v[1:2], null, s14, v41, 0
	v_mad_co_u64_u32 v[3:4], null, s12, v0, 0
	s_lshl_b64 s[2:3], s[12:13], 9
	s_delay_alu instid0(VALU_DEP_1) | instskip(NEXT) | instid1(VALU_DEP_1)
	v_mad_co_u64_u32 v[5:6], null, s15, v41, v[2:3]
	v_mad_co_u64_u32 v[6:7], null, s13, v0, v[4:5]
	v_mov_b32_e32 v2, v5
	s_delay_alu instid0(VALU_DEP_1) | instskip(NEXT) | instid1(VALU_DEP_3)
	v_lshlrev_b64_e32 v[1:2], 3, v[1:2]
	v_mov_b32_e32 v4, v6
	s_delay_alu instid0(VALU_DEP_2) | instskip(NEXT) | instid1(VALU_DEP_2)
	v_add_co_u32 v1, vcc_lo, s18, v1
	v_lshlrev_b64_e32 v[3:4], 3, v[3:4]
	s_delay_alu instid0(VALU_DEP_4) | instskip(NEXT) | instid1(VALU_DEP_2)
	v_add_co_ci_u32_e32 v2, vcc_lo, s19, v2, vcc_lo
	v_add_co_u32 v1, vcc_lo, v1, v3
	s_wait_alu 0xfffd
	s_delay_alu instid0(VALU_DEP_2) | instskip(SKIP_1) | instid1(VALU_DEP_2)
	v_add_co_ci_u32_e32 v2, vcc_lo, v2, v4, vcc_lo
	s_wait_alu 0xfffe
	v_add_co_u32 v3, vcc_lo, v1, s2
	s_wait_alu 0xfffd
	s_delay_alu instid0(VALU_DEP_2)
	v_add_co_ci_u32_e32 v4, vcc_lo, s3, v2, vcc_lo
	global_load_b64 v[1:2], v[1:2], off
	v_add_co_u32 v5, vcc_lo, v3, s2
	s_wait_alu 0xfffd
	v_add_co_ci_u32_e32 v6, vcc_lo, s3, v4, vcc_lo
	global_load_b64 v[3:4], v[3:4], off
	v_add_co_u32 v7, vcc_lo, v5, s2
	s_wait_alu 0xfffd
	;; [unrolled: 4-line block ×3, first 2 shown]
	v_add_co_ci_u32_e32 v10, vcc_lo, s3, v8, vcc_lo
	s_delay_alu instid0(VALU_DEP_2) | instskip(SKIP_1) | instid1(VALU_DEP_2)
	v_add_co_u32 v11, vcc_lo, v9, s2
	s_wait_alu 0xfffd
	v_add_co_ci_u32_e32 v12, vcc_lo, s3, v10, vcc_lo
	s_clause 0x1
	global_load_b64 v[7:8], v[7:8], off
	global_load_b64 v[9:10], v[9:10], off
	v_add_co_u32 v13, vcc_lo, v11, s2
	s_wait_alu 0xfffd
	v_add_co_ci_u32_e32 v14, vcc_lo, s3, v12, vcc_lo
	global_load_b64 v[11:12], v[11:12], off
	v_add_co_u32 v15, vcc_lo, v13, s2
	s_wait_alu 0xfffd
	v_add_co_ci_u32_e32 v16, vcc_lo, s3, v14, vcc_lo
	s_add_nc_u64 s[2:3], s[8:9], 0x1000
	s_wait_loadcnt 0x5
	v_mul_f32_e32 v17, v2, v26
	global_load_b64 v[13:14], v[13:14], off
	s_clause 0x1
	global_load_b64 v[37:38], v46, s[8:9] offset:3072
	global_load_b64 v[39:40], v46, s[8:9] offset:3584
	global_load_b64 v[15:16], v[15:16], off
	v_mul_f32_e32 v18, v1, v26
	s_load_b128 s[4:7], s[6:7], 0x0
	v_or_b32_e32 v44, v46, v0
	v_fmac_f32_e32 v17, v1, v25
	s_wait_loadcnt 0x8
	v_mul_f32_e32 v1, v4, v28
	v_mul_f32_e32 v20, v3, v28
	s_wait_loadcnt 0x7
	v_dual_mul_f32 v19, v6, v30 :: v_dual_and_b32 v44, 0x1c7, v44
	v_mul_f32_e32 v21, v5, v30
	v_fmac_f32_e32 v1, v3, v27
	v_fma_f32 v18, v2, v25, -v18
	v_fma_f32 v2, v4, v27, -v20
	v_dual_fmac_f32 v19, v5, v29 :: v_dual_lshlrev_b32 v48, 3, v44
	v_mad_co_u64_u32 v[44:45], null, v0, 56, s[10:11]
	s_wait_loadcnt 0x6
	v_mul_f32_e32 v3, v8, v32
	v_mul_f32_e32 v4, v7, v32
	v_fma_f32 v20, v6, v29, -v21
	s_wait_loadcnt 0x5
	v_mul_f32_e32 v6, v9, v34
	v_mul_f32_e32 v5, v10, v34
	v_fmac_f32_e32 v3, v7, v31
	s_wait_loadcnt 0x4
	v_mul_f32_e32 v7, v12, v36
	v_fma_f32 v4, v8, v31, -v4
	v_dual_mul_f32 v8, v11, v36 :: v_dual_fmac_f32 v5, v9, v33
	v_fma_f32 v6, v10, v33, -v6
	s_delay_alu instid0(VALU_DEP_4) | instskip(NEXT) | instid1(VALU_DEP_3)
	v_fmac_f32_e32 v7, v11, v35
	v_fma_f32 v8, v12, v35, -v8
	s_wait_loadcnt 0x2
	v_mul_f32_e32 v9, v14, v38
	s_wait_loadcnt 0x0
	v_dual_mul_f32 v10, v13, v38 :: v_dual_mul_f32 v11, v16, v40
	v_mul_f32_e32 v21, v15, v40
	s_delay_alu instid0(VALU_DEP_3) | instskip(NEXT) | instid1(VALU_DEP_3)
	v_fmac_f32_e32 v9, v13, v37
	v_fma_f32 v10, v14, v37, -v10
	s_delay_alu instid0(VALU_DEP_4) | instskip(NEXT) | instid1(VALU_DEP_4)
	v_fmac_f32_e32 v11, v15, v39
	v_fma_f32 v12, v16, v39, -v21
	ds_store_2addr_stride64_b64 v46, v[17:18], v[1:2] offset1:1
	ds_store_2addr_stride64_b64 v46, v[19:20], v[3:4] offset0:2 offset1:3
	ds_store_2addr_stride64_b64 v46, v[5:6], v[7:8] offset0:4 offset1:5
	;; [unrolled: 1-line block ×3, first 2 shown]
	global_wb scope:SCOPE_SE
	s_wait_dscnt 0x0
	s_wait_kmcnt 0x0
	s_barrier_signal -1
	s_barrier_wait -1
	global_inv scope:SCOPE_SE
	ds_load_2addr_stride64_b64 v[1:4], v46 offset0:4 offset1:5
	ds_load_2addr_stride64_b64 v[5:8], v46 offset1:1
	ds_load_2addr_stride64_b64 v[9:12], v46 offset0:2 offset1:3
	ds_load_2addr_stride64_b64 v[13:16], v46 offset0:6 offset1:7
	global_wb scope:SCOPE_SE
	s_wait_dscnt 0x0
	s_barrier_signal -1
	s_barrier_wait -1
	global_inv scope:SCOPE_SE
	v_dual_sub_f32 v2, v6, v2 :: v_dual_sub_f32 v3, v7, v3
	v_dual_sub_f32 v14, v10, v14 :: v_dual_sub_f32 v13, v9, v13
	v_sub_f32_e32 v4, v8, v4
	s_delay_alu instid0(VALU_DEP_3) | instskip(SKIP_1) | instid1(VALU_DEP_4)
	v_fma_f32 v6, v6, 2.0, -v2
	v_sub_f32_e32 v15, v11, v15
	v_fma_f32 v10, v10, 2.0, -v14
	v_sub_f32_e32 v16, v12, v16
	v_fma_f32 v9, v9, 2.0, -v13
	v_fma_f32 v7, v7, 2.0, -v3
	;; [unrolled: 1-line block ×3, first 2 shown]
	v_sub_f32_e32 v10, v6, v10
	v_fma_f32 v11, v11, 2.0, -v15
	v_fma_f32 v12, v12, 2.0, -v16
	v_add_f32_e32 v19, v2, v13
	v_sub_f32_e32 v13, v3, v16
	v_fma_f32 v22, v6, 2.0, -v10
	v_sub_f32_e32 v1, v5, v1
	v_add_f32_e32 v15, v4, v15
	v_fma_f32 v20, v2, 2.0, -v19
	v_sub_f32_e32 v2, v7, v11
	v_fma_f32 v11, v3, 2.0, -v13
	v_fma_f32 v5, v5, 2.0, -v1
	v_dual_sub_f32 v14, v1, v14 :: v_dual_and_b32 v17, 7, v0
	s_delay_alu instid0(VALU_DEP_2) | instskip(NEXT) | instid1(VALU_DEP_2)
	v_sub_f32_e32 v9, v5, v9
	v_fma_f32 v16, v1, 2.0, -v14
	v_sub_f32_e32 v1, v8, v12
	v_fma_f32 v12, v4, 2.0, -v15
	v_fmamk_f32 v3, v13, 0x3f3504f3, v14
	v_fma_f32 v21, v5, 2.0, -v9
	v_fma_f32 v5, v7, 2.0, -v2
	v_fma_f32 v6, v8, 2.0, -v1
	v_fmamk_f32 v7, v11, 0xbf3504f3, v16
	v_fmamk_f32 v8, v12, 0xbf3504f3, v20
	;; [unrolled: 1-line block ×3, first 2 shown]
	v_mad_co_u64_u32 v[17:18], null, v17, 56, s[10:11]
	v_fmac_f32_e32 v3, 0xbf3504f3, v15
	v_dual_sub_f32 v5, v21, v5 :: v_dual_sub_f32 v6, v22, v6
	v_fmac_f32_e32 v7, 0xbf3504f3, v12
	v_dual_fmac_f32 v8, 0x3f3504f3, v11 :: v_dual_lshlrev_b32 v47, 6, v0
	v_fmac_f32_e32 v4, 0x3f3504f3, v13
	v_dual_sub_f32 v1, v9, v1 :: v_dual_add_f32 v2, v10, v2
	v_fma_f32 v11, v14, 2.0, -v3
	v_fma_f32 v13, v21, 2.0, -v5
	;; [unrolled: 1-line block ×8, first 2 shown]
	ds_store_b128 v47, v[5:8] offset:32
	ds_store_b128 v47, v[1:4] offset:48
	ds_store_b128 v47, v[13:16]
	ds_store_b128 v47, v[9:12] offset:16
	global_wb scope:SCOPE_SE
	s_wait_dscnt 0x0
	s_barrier_signal -1
	s_barrier_wait -1
	global_inv scope:SCOPE_SE
	s_clause 0x3
	global_load_b128 v[9:12], v[17:18], off
	global_load_b128 v[5:8], v[17:18], off offset:16
	global_load_b128 v[1:4], v[17:18], off offset:32
	global_load_b64 v[42:43], v[17:18], off offset:48
	ds_load_2addr_stride64_b64 v[13:16], v46 offset1:1
	ds_load_2addr_stride64_b64 v[17:20], v46 offset0:2 offset1:3
	ds_load_2addr_stride64_b64 v[21:24], v46 offset0:4 offset1:5
	;; [unrolled: 1-line block ×3, first 2 shown]
	global_wb scope:SCOPE_SE
	s_wait_loadcnt_dscnt 0x0
	s_barrier_signal -1
	s_barrier_wait -1
	global_inv scope:SCOPE_SE
	v_mul_f32_e32 v56, v17, v12
	v_mul_f32_e32 v58, v19, v6
	;; [unrolled: 1-line block ×3, first 2 shown]
	v_dual_mul_f32 v66, v51, v43 :: v_dual_mul_f32 v59, v22, v8
	v_mul_f32_e32 v60, v21, v8
	v_dual_mul_f32 v62, v23, v2 :: v_dual_mul_f32 v55, v18, v12
	v_fmac_f32_e32 v56, v18, v11
	v_fmac_f32_e32 v58, v20, v5
	;; [unrolled: 1-line block ×3, first 2 shown]
	s_delay_alu instid0(VALU_DEP_4)
	v_fmac_f32_e32 v62, v24, v1
	v_fma_f32 v18, v21, v7, -v59
	v_mul_f32_e32 v63, v50, v4
	v_dual_mul_f32 v64, v49, v4 :: v_dual_mul_f32 v53, v16, v10
	v_fmac_f32_e32 v54, v16, v9
	v_fma_f32 v16, v17, v11, -v55
	v_fmac_f32_e32 v60, v22, v7
	s_delay_alu instid0(VALU_DEP_4) | instskip(SKIP_2) | instid1(VALU_DEP_4)
	v_dual_fmac_f32 v64, v50, v3 :: v_dual_mul_f32 v57, v20, v6
	v_sub_f32_e32 v18, v13, v18
	v_fma_f32 v20, v49, v3, -v63
	v_sub_f32_e32 v22, v14, v60
	v_sub_f32_e32 v49, v58, v66
	v_mul_f32_e32 v61, v24, v2
	v_dual_mul_f32 v65, v52, v43 :: v_dual_sub_f32 v24, v54, v62
	v_fma_f32 v15, v15, v9, -v53
	v_fma_f32 v17, v19, v5, -v57
	s_delay_alu instid0(VALU_DEP_4)
	v_fma_f32 v19, v23, v1, -v61
	v_sub_f32_e32 v20, v16, v20
	v_fma_f32 v21, v51, v42, -v65
	v_fma_f32 v51, v14, 2.0, -v22
	v_sub_f32_e32 v23, v56, v64
	v_sub_f32_e32 v19, v15, v19
	v_add_f32_e32 v53, v22, v20
	v_fma_f32 v50, v13, 2.0, -v18
	v_fma_f32 v13, v16, 2.0, -v20
	v_fma_f32 v14, v56, 2.0, -v23
	v_fma_f32 v15, v15, 2.0, -v19
	v_fma_f32 v56, v22, 2.0, -v53
	v_sub_f32_e32 v21, v17, v21
	v_fma_f32 v16, v54, 2.0, -v24
	v_sub_f32_e32 v54, v51, v14
	s_delay_alu instid0(VALU_DEP_3) | instskip(SKIP_2) | instid1(VALU_DEP_4)
	v_fma_f32 v17, v17, 2.0, -v21
	v_add_f32_e32 v21, v24, v21
	v_sub_f32_e32 v23, v18, v23
	v_fma_f32 v51, v51, 2.0, -v54
	s_delay_alu instid0(VALU_DEP_3) | instskip(NEXT) | instid1(VALU_DEP_3)
	v_fmamk_f32 v14, v21, 0x3f3504f3, v53
	v_fma_f32 v55, v18, 2.0, -v23
	v_sub_f32_e32 v18, v15, v17
	v_fma_f32 v52, v58, 2.0, -v49
	v_sub_f32_e32 v20, v19, v49
	v_sub_f32_e32 v49, v50, v13
	s_delay_alu instid0(VALU_DEP_3) | instskip(NEXT) | instid1(VALU_DEP_3)
	v_sub_f32_e32 v17, v16, v52
	v_fma_f32 v22, v19, 2.0, -v20
	v_fma_f32 v19, v15, 2.0, -v18
	v_add_f32_e32 v18, v54, v18
	v_fma_f32 v24, v24, 2.0, -v21
	v_fma_f32 v52, v16, 2.0, -v17
	v_fmamk_f32 v13, v20, 0x3f3504f3, v23
	v_fmamk_f32 v15, v22, 0xbf3504f3, v55
	v_fmac_f32_e32 v14, 0x3f3504f3, v20
	v_fma_f32 v50, v50, 2.0, -v49
	v_dual_fmamk_f32 v16, v24, 0xbf3504f3, v56 :: v_dual_sub_f32 v17, v49, v17
	v_dual_sub_f32 v20, v51, v52 :: v_dual_fmac_f32 v13, 0xbf3504f3, v21
	s_delay_alu instid0(VALU_DEP_3) | instskip(SKIP_1) | instid1(VALU_DEP_4)
	v_sub_f32_e32 v19, v50, v19
	v_fmac_f32_e32 v15, 0xbf3504f3, v24
	v_fmac_f32_e32 v16, 0x3f3504f3, v22
	v_fma_f32 v21, v49, 2.0, -v17
	v_fma_f32 v22, v54, 2.0, -v18
	;; [unrolled: 1-line block ×8, first 2 shown]
	ds_store_2addr_b64 v48, v[17:18], v[13:14] offset0:48 offset1:56
	ds_store_2addr_b64 v48, v[21:22], v[23:24] offset0:16 offset1:24
	;; [unrolled: 1-line block ×3, first 2 shown]
	ds_store_2addr_b64 v48, v[49:50], v[51:52] offset1:8
	global_wb scope:SCOPE_SE
	s_wait_dscnt 0x0
	s_barrier_signal -1
	s_barrier_wait -1
	global_inv scope:SCOPE_SE
	s_clause 0x3
	global_load_b128 v[21:24], v[44:45], off offset:448
	global_load_b128 v[17:20], v[44:45], off offset:464
	;; [unrolled: 1-line block ×3, first 2 shown]
	global_load_b64 v[44:45], v[44:45], off offset:496
	ds_load_2addr_stride64_b64 v[49:52], v46 offset1:1
	ds_load_2addr_stride64_b64 v[53:56], v46 offset0:2 offset1:3
	ds_load_2addr_stride64_b64 v[57:60], v46 offset0:4 offset1:5
	;; [unrolled: 1-line block ×3, first 2 shown]
	s_wait_loadcnt_dscnt 0x303
	v_mul_f32_e32 v65, v52, v22
	v_mul_f32_e32 v66, v51, v22
	s_wait_loadcnt_dscnt 0x100
	v_mul_f32_e32 v76, v61, v16
	v_mul_f32_e32 v67, v54, v24
	v_dual_mul_f32 v68, v53, v24 :: v_dual_mul_f32 v69, v56, v18
	v_mul_f32_e32 v70, v55, v18
	v_dual_mul_f32 v72, v57, v20 :: v_dual_mul_f32 v73, v60, v14
	v_dual_mul_f32 v74, v59, v14 :: v_dual_mul_f32 v75, v62, v16
	s_wait_loadcnt 0x0
	v_dual_mul_f32 v78, v63, v45 :: v_dual_mul_f32 v71, v58, v20
	v_fmac_f32_e32 v70, v56, v17
	v_dual_mul_f32 v77, v64, v45 :: v_dual_fmac_f32 v76, v62, v15
	v_fma_f32 v51, v51, v21, -v65
	v_fmac_f32_e32 v66, v52, v21
	v_fma_f32 v52, v53, v23, -v67
	v_fmac_f32_e32 v68, v54, v23
	;; [unrolled: 2-line block ×5, first 2 shown]
	v_fma_f32 v54, v57, v19, -v71
	v_sub_f32_e32 v55, v51, v55
	v_fma_f32 v57, v63, v44, -v77
	s_delay_alu instid0(VALU_DEP_4) | instskip(NEXT) | instid1(VALU_DEP_4)
	v_dual_sub_f32 v56, v52, v56 :: v_dual_sub_f32 v61, v70, v78
	v_dual_sub_f32 v54, v49, v54 :: v_dual_sub_f32 v59, v68, v76
	s_delay_alu instid0(VALU_DEP_3) | instskip(NEXT) | instid1(VALU_DEP_3)
	v_dual_sub_f32 v58, v50, v72 :: v_dual_sub_f32 v57, v53, v57
	v_fma_f32 v64, v70, 2.0, -v61
	v_sub_f32_e32 v60, v66, v74
	s_delay_alu instid0(VALU_DEP_4) | instskip(NEXT) | instid1(VALU_DEP_4)
	v_fma_f32 v62, v49, 2.0, -v54
	v_fma_f32 v63, v50, 2.0, -v58
	;; [unrolled: 1-line block ×7, first 2 shown]
	v_sub_f32_e32 v59, v54, v59
	v_dual_add_f32 v65, v58, v56 :: v_dual_sub_f32 v66, v63, v50
	v_sub_f32_e32 v56, v55, v61
	s_delay_alu instid0(VALU_DEP_3) | instskip(SKIP_4) | instid1(VALU_DEP_4)
	v_fma_f32 v67, v54, 2.0, -v59
	v_dual_sub_f32 v54, v51, v53 :: v_dual_sub_f32 v53, v52, v64
	v_add_f32_e32 v57, v60, v57
	v_fma_f32 v68, v58, 2.0, -v65
	v_fma_f32 v58, v55, 2.0, -v56
	;; [unrolled: 1-line block ×3, first 2 shown]
	v_add_f32_e32 v54, v66, v54
	v_dual_sub_f32 v61, v62, v49 :: v_dual_fmamk_f32 v50, v57, 0x3f3504f3, v65
	v_fma_f32 v60, v60, 2.0, -v57
	v_fmamk_f32 v49, v56, 0x3f3504f3, v59
	v_fma_f32 v63, v63, 2.0, -v66
	s_delay_alu instid0(VALU_DEP_4) | instskip(SKIP_3) | instid1(VALU_DEP_3)
	v_fma_f32 v62, v62, 2.0, -v61
	v_fma_f32 v64, v52, 2.0, -v53
	v_dual_fmamk_f32 v51, v58, 0xbf3504f3, v67 :: v_dual_fmamk_f32 v52, v60, 0xbf3504f3, v68
	v_dual_sub_f32 v53, v61, v53 :: v_dual_fmac_f32 v50, 0x3f3504f3, v56
	v_dual_fmac_f32 v49, 0xbf3504f3, v57 :: v_dual_sub_f32 v56, v63, v64
	s_delay_alu instid0(VALU_DEP_3) | instskip(NEXT) | instid1(VALU_DEP_4)
	v_dual_sub_f32 v55, v62, v55 :: v_dual_fmac_f32 v52, 0x3f3504f3, v58
	v_fmac_f32_e32 v51, 0xbf3504f3, v60
	s_delay_alu instid0(VALU_DEP_4) | instskip(SKIP_1) | instid1(VALU_DEP_4)
	v_fma_f32 v57, v61, 2.0, -v53
	v_fma_f32 v58, v66, 2.0, -v54
	;; [unrolled: 1-line block ×8, first 2 shown]
	ds_store_2addr_stride64_b64 v46, v[55:56], v[51:52] offset0:4 offset1:5
	ds_store_2addr_stride64_b64 v46, v[53:54], v[49:50] offset0:6 offset1:7
	ds_store_2addr_stride64_b64 v46, v[61:62], v[63:64] offset1:1
	ds_store_2addr_stride64_b64 v46, v[57:58], v[59:60] offset0:2 offset1:3
	global_wb scope:SCOPE_SE
	s_wait_dscnt 0x0
	s_barrier_signal -1
	s_barrier_wait -1
	global_inv scope:SCOPE_SE
	s_clause 0x7
	global_load_b64 v[65:66], v46, s[8:9] offset:4096
	global_load_b64 v[67:68], v46, s[2:3] offset:512
	;; [unrolled: 1-line block ×8, first 2 shown]
	ds_load_2addr_stride64_b64 v[49:52], v46 offset1:1
	ds_load_2addr_stride64_b64 v[53:56], v46 offset0:2 offset1:3
	ds_load_2addr_stride64_b64 v[57:60], v46 offset0:4 offset1:5
	;; [unrolled: 1-line block ×3, first 2 shown]
	s_load_b64 s[2:3], s[0:1], 0x38
	s_lshl_b64 s[0:1], s[4:5], 9
	s_wait_loadcnt_dscnt 0x703
	v_mul_f32_e32 v82, v49, v66
	s_wait_loadcnt 0x6
	v_dual_mul_f32 v81, v50, v66 :: v_dual_mul_f32 v66, v51, v68
	s_wait_loadcnt_dscnt 0x502
	v_dual_mul_f32 v83, v52, v68 :: v_dual_mul_f32 v84, v54, v70
	s_wait_loadcnt 0x4
	v_dual_mul_f32 v68, v53, v70 :: v_dual_mul_f32 v85, v56, v72
	v_fmac_f32_e32 v82, v50, v65
	v_mul_f32_e32 v50, v55, v72
	s_wait_loadcnt_dscnt 0x301
	v_mul_f32_e32 v86, v58, v74
	v_fmac_f32_e32 v66, v52, v67
	v_mul_f32_e32 v52, v57, v74
	s_wait_loadcnt 0x2
	v_mul_f32_e32 v74, v60, v76
	v_mul_f32_e32 v70, v59, v76
	v_fma_f32 v81, v49, v65, -v81
	v_fma_f32 v65, v51, v67, -v83
	s_wait_loadcnt_dscnt 0x100
	v_mul_f32_e32 v76, v62, v78
	v_fma_f32 v67, v53, v69, -v84
	v_mul_f32_e32 v72, v61, v78
	s_wait_loadcnt 0x0
	v_dual_fmac_f32 v68, v54, v69 :: v_dual_mul_f32 v53, v64, v80
	v_mul_f32_e32 v54, v63, v80
	v_fma_f32 v49, v55, v71, -v85
	v_fmac_f32_e32 v50, v56, v71
	v_fma_f32 v51, v57, v73, -v86
	v_fmac_f32_e32 v52, v58, v73
	v_fma_f32 v69, v59, v75, -v74
	v_fmac_f32_e32 v70, v60, v75
	v_fma_f32 v71, v61, v77, -v76
	v_fmac_f32_e32 v72, v62, v77
	v_fma_f32 v53, v63, v79, -v53
	v_fmac_f32_e32 v54, v64, v79
	ds_store_2addr_stride64_b64 v46, v[81:82], v[65:66] offset1:1
	ds_store_2addr_stride64_b64 v46, v[67:68], v[49:50] offset0:2 offset1:3
	ds_store_2addr_stride64_b64 v46, v[51:52], v[69:70] offset0:4 offset1:5
	;; [unrolled: 1-line block ×3, first 2 shown]
	global_wb scope:SCOPE_SE
	s_wait_dscnt 0x0
	s_wait_kmcnt 0x0
	s_barrier_signal -1
	s_barrier_wait -1
	global_inv scope:SCOPE_SE
	ds_load_2addr_stride64_b64 v[49:52], v46 offset1:1
	ds_load_2addr_stride64_b64 v[53:56], v46 offset0:2 offset1:3
	ds_load_2addr_stride64_b64 v[57:60], v46 offset0:4 offset1:5
	ds_load_2addr_stride64_b64 v[61:64], v46 offset0:6 offset1:7
	v_mad_co_u64_u32 v[65:66], null, s6, v41, 0
	v_mad_co_u64_u32 v[67:68], null, s4, v0, 0
	global_wb scope:SCOPE_SE
	s_wait_dscnt 0x0
	s_barrier_signal -1
	s_barrier_wait -1
	global_inv scope:SCOPE_SE
	v_mad_co_u64_u32 v[69:70], null, s7, v41, v[66:67]
	v_sub_f32_e32 v41, v49, v57
	v_dual_sub_f32 v57, v50, v58 :: v_dual_sub_f32 v58, v53, v61
	v_sub_f32_e32 v61, v54, v62
	v_dual_sub_f32 v59, v51, v59 :: v_dual_sub_f32 v60, v52, v60
	v_dual_sub_f32 v62, v55, v63 :: v_dual_sub_f32 v63, v56, v64
	v_fma_f32 v49, v49, 2.0, -v41
	v_fma_f32 v50, v50, 2.0, -v57
	;; [unrolled: 1-line block ×8, first 2 shown]
	v_add_f32_e32 v61, v41, v61
	v_sub_f32_e32 v70, v57, v58
	v_add_f32_e32 v58, v59, v63
	v_dual_sub_f32 v62, v60, v62 :: v_dual_sub_f32 v63, v49, v53
	v_sub_f32_e32 v71, v50, v54
	v_fma_f32 v41, v41, 2.0, -v61
	v_fma_f32 v72, v57, 2.0, -v70
	v_dual_sub_f32 v53, v64, v51 :: v_dual_sub_f32 v54, v66, v52
	v_fma_f32 v57, v59, 2.0, -v58
	v_fma_f32 v59, v60, 2.0, -v62
	v_fmamk_f32 v51, v58, 0x3f3504f3, v61
	v_fma_f32 v60, v49, 2.0, -v63
	v_fma_f32 v73, v50, 2.0, -v71
	;; [unrolled: 1-line block ×4, first 2 shown]
	v_dual_fmamk_f32 v55, v57, 0xbf3504f3, v41 :: v_dual_fmamk_f32 v56, v59, 0xbf3504f3, v72
	v_dual_fmamk_f32 v52, v62, 0x3f3504f3, v70 :: v_dual_add_f32 v49, v63, v54
	v_dual_sub_f32 v50, v71, v53 :: v_dual_fmac_f32 v51, 0x3f3504f3, v62
	s_delay_alu instid0(VALU_DEP_4) | instskip(NEXT) | instid1(VALU_DEP_4)
	v_dual_sub_f32 v53, v60, v64 :: v_dual_sub_f32 v54, v73, v66
	v_fmac_f32_e32 v55, 0x3f3504f3, v59
	v_fmac_f32_e32 v56, 0xbf3504f3, v57
	;; [unrolled: 1-line block ×3, first 2 shown]
	v_fma_f32 v57, v63, 2.0, -v49
	v_fma_f32 v59, v61, 2.0, -v51
	;; [unrolled: 1-line block ×8, first 2 shown]
	ds_store_b128 v47, v[53:56] offset:32
	ds_store_b128 v47, v[49:52] offset:48
	ds_store_b128 v47, v[61:64]
	ds_store_b128 v47, v[57:60] offset:16
	global_wb scope:SCOPE_SE
	s_wait_dscnt 0x0
	s_barrier_signal -1
	s_barrier_wait -1
	global_inv scope:SCOPE_SE
	ds_load_2addr_stride64_b64 v[49:52], v46 offset1:1
	ds_load_2addr_stride64_b64 v[53:56], v46 offset0:2 offset1:3
	ds_load_2addr_stride64_b64 v[57:60], v46 offset0:4 offset1:5
	;; [unrolled: 1-line block ×3, first 2 shown]
	v_mad_co_u64_u32 v[70:71], null, s5, v0, v[68:69]
	v_mov_b32_e32 v66, v69
	global_wb scope:SCOPE_SE
	s_wait_dscnt 0x0
	s_barrier_signal -1
	s_barrier_wait -1
	global_inv scope:SCOPE_SE
	v_dual_mul_f32 v0, v10, v52 :: v_dual_mul_f32 v41, v12, v54
	v_mul_f32_e32 v47, v6, v56
	v_dual_mul_f32 v71, v4, v62 :: v_dual_mul_f32 v6, v6, v55
	v_mul_f32_e32 v69, v8, v58
	v_mul_f32_e32 v8, v8, v57
	v_fmac_f32_e32 v41, v11, v53
	s_delay_alu instid0(VALU_DEP_4)
	v_fmac_f32_e32 v71, v3, v61
	v_fmac_f32_e32 v47, v5, v55
	v_fma_f32 v5, v5, v56, -v6
	v_fmac_f32_e32 v69, v7, v57
	v_fma_f32 v6, v7, v58, -v8
	v_sub_f32_e32 v7, v41, v71
	v_fmac_f32_e32 v0, v9, v51
	v_mul_f32_e32 v4, v4, v61
	v_mul_f32_e32 v72, v43, v64
	;; [unrolled: 1-line block ×3, first 2 shown]
	v_fma_f32 v41, v41, 2.0, -v7
	v_mul_f32_e32 v10, v10, v51
	v_sub_f32_e32 v6, v50, v6
	v_fmac_f32_e32 v72, v42, v63
	s_delay_alu instid0(VALU_DEP_3) | instskip(SKIP_3) | instid1(VALU_DEP_2)
	v_fma_f32 v9, v9, v52, -v10
	v_mov_b32_e32 v68, v70
	v_mul_f32_e32 v70, v2, v60
	v_mul_f32_e32 v2, v2, v59
	v_fmac_f32_e32 v70, v1, v59
	s_delay_alu instid0(VALU_DEP_2) | instskip(SKIP_3) | instid1(VALU_DEP_4)
	v_fma_f32 v1, v1, v60, -v2
	v_fma_f32 v2, v3, v62, -v4
	;; [unrolled: 1-line block ×3, first 2 shown]
	v_sub_f32_e32 v4, v49, v69
	v_dual_sub_f32 v8, v0, v70 :: v_dual_sub_f32 v1, v9, v1
	s_delay_alu instid0(VALU_DEP_3) | instskip(SKIP_1) | instid1(VALU_DEP_3)
	v_dual_mul_f32 v12, v12, v53 :: v_dual_sub_f32 v3, v5, v3
	v_fma_f32 v42, v50, 2.0, -v6
	v_fma_f32 v43, v0, 2.0, -v8
	s_delay_alu instid0(VALU_DEP_4) | instskip(NEXT) | instid1(VALU_DEP_4)
	v_fma_f32 v9, v9, 2.0, -v1
	v_fma_f32 v10, v11, v54, -v12
	v_sub_f32_e32 v11, v47, v72
	v_fma_f32 v12, v49, 2.0, -v4
	v_fma_f32 v5, v5, 2.0, -v3
	v_sub_f32_e32 v49, v6, v7
	v_sub_f32_e32 v2, v10, v2
	v_fma_f32 v0, v47, 2.0, -v11
	v_add_f32_e32 v7, v8, v3
	v_sub_f32_e32 v11, v1, v11
	v_sub_f32_e32 v41, v12, v41
	v_fma_f32 v10, v10, 2.0, -v2
	v_add_f32_e32 v47, v4, v2
	v_fma_f32 v51, v6, 2.0, -v49
	v_sub_f32_e32 v6, v43, v0
	v_fma_f32 v8, v8, 2.0, -v7
	v_sub_f32_e32 v10, v42, v10
	;; [unrolled: 2-line block ×3, first 2 shown]
	v_fma_f32 v52, v1, 2.0, -v11
	v_fmamk_f32 v0, v7, 0x3f3504f3, v47
	v_fmamk_f32 v1, v11, 0x3f3504f3, v49
	v_fma_f32 v12, v12, 2.0, -v41
	v_fma_f32 v42, v42, 2.0, -v10
	;; [unrolled: 1-line block ×4, first 2 shown]
	v_fmamk_f32 v2, v8, 0xbf3504f3, v50
	v_dual_fmamk_f32 v3, v52, 0xbf3504f3, v51 :: v_dual_add_f32 v4, v41, v4
	v_dual_sub_f32 v5, v10, v6 :: v_dual_fmac_f32 v0, 0x3f3504f3, v11
	v_fmac_f32_e32 v1, 0xbf3504f3, v7
	v_dual_sub_f32 v6, v12, v43 :: v_dual_sub_f32 v7, v42, v9
	v_fmac_f32_e32 v2, 0x3f3504f3, v52
	v_fmac_f32_e32 v3, 0xbf3504f3, v8
	v_fma_f32 v8, v41, 2.0, -v4
	v_fma_f32 v9, v10, 2.0, -v5
	;; [unrolled: 1-line block ×8, first 2 shown]
	ds_store_2addr_b64 v48, v[4:5], v[0:1] offset0:48 offset1:56
	ds_store_2addr_b64 v48, v[8:9], v[10:11] offset0:16 offset1:24
	;; [unrolled: 1-line block ×3, first 2 shown]
	ds_store_2addr_b64 v48, v[41:42], v[49:50] offset1:8
	global_wb scope:SCOPE_SE
	s_wait_dscnt 0x0
	s_barrier_signal -1
	s_barrier_wait -1
	global_inv scope:SCOPE_SE
	ds_load_2addr_stride64_b64 v[0:3], v46 offset1:1
	ds_load_2addr_stride64_b64 v[4:7], v46 offset0:2 offset1:3
	ds_load_2addr_stride64_b64 v[8:11], v46 offset0:4 offset1:5
	;; [unrolled: 1-line block ×3, first 2 shown]
	v_lshlrev_b64_e32 v[65:66], 3, v[65:66]
	v_lshlrev_b64_e32 v[67:68], 3, v[67:68]
	s_delay_alu instid0(VALU_DEP_2) | instskip(SKIP_1) | instid1(VALU_DEP_3)
	v_add_co_u32 v12, vcc_lo, s2, v65
	s_wait_alu 0xfffd
	v_add_co_ci_u32_e32 v42, vcc_lo, s3, v66, vcc_lo
	s_delay_alu instid0(VALU_DEP_2) | instskip(SKIP_1) | instid1(VALU_DEP_2)
	v_add_co_u32 v41, vcc_lo, v12, v67
	s_wait_alu 0xfffd
	v_add_co_ci_u32_e32 v42, vcc_lo, v42, v68, vcc_lo
	s_wait_dscnt 0x3
	v_mul_f32_e32 v12, v22, v3
	s_wait_dscnt 0x2
	v_dual_mul_f32 v22, v22, v2 :: v_dual_mul_f32 v43, v24, v5
	v_dual_mul_f32 v24, v24, v4 :: v_dual_mul_f32 v55, v18, v7
	v_mul_f32_e32 v18, v18, v6
	s_wait_dscnt 0x1
	v_mul_f32_e32 v56, v20, v9
	v_dual_mul_f32 v20, v20, v8 :: v_dual_mul_f32 v57, v14, v11
	v_mul_f32_e32 v14, v14, v10
	s_wait_dscnt 0x0
	v_mul_f32_e32 v58, v16, v48
	v_dual_mul_f32 v16, v16, v47 :: v_dual_mul_f32 v59, v45, v50
	v_mul_f32_e32 v45, v45, v49
	v_fmac_f32_e32 v12, v21, v2
	v_fma_f32 v2, v21, v3, -v22
	v_fmac_f32_e32 v43, v23, v4
	v_fma_f32 v3, v23, v5, -v24
	;; [unrolled: 2-line block ×7, first 2 shown]
	v_sub_f32_e32 v9, v0, v56
	v_dual_sub_f32 v5, v1, v5 :: v_dual_sub_f32 v10, v43, v58
	v_sub_f32_e32 v7, v3, v7
	v_dual_sub_f32 v11, v12, v57 :: v_dual_sub_f32 v6, v2, v6
	v_dual_sub_f32 v13, v55, v59 :: v_dual_sub_f32 v8, v4, v8
	v_fma_f32 v14, v0, 2.0, -v9
	v_fma_f32 v15, v1, 2.0, -v5
	;; [unrolled: 1-line block ×8, first 2 shown]
	v_add_f32_e32 v16, v9, v7
	v_sub_f32_e32 v17, v5, v10
	v_dual_add_f32 v7, v11, v8 :: v_dual_sub_f32 v8, v6, v13
	v_dual_sub_f32 v10, v14, v0 :: v_dual_sub_f32 v13, v15, v1
	s_delay_alu instid0(VALU_DEP_4) | instskip(NEXT) | instid1(VALU_DEP_4)
	v_fma_f32 v18, v9, 2.0, -v16
	v_fma_f32 v19, v5, 2.0, -v17
	v_sub_f32_e32 v5, v3, v12
	v_sub_f32_e32 v4, v2, v4
	v_fma_f32 v9, v11, 2.0, -v7
	v_fma_f32 v11, v6, 2.0, -v8
	v_fmamk_f32 v1, v8, 0x3f3504f3, v17
	v_fma_f32 v12, v14, 2.0, -v10
	v_fma_f32 v14, v15, 2.0, -v13
	;; [unrolled: 1-line block ×4, first 2 shown]
	v_dual_fmamk_f32 v2, v9, 0xbf3504f3, v18 :: v_dual_fmamk_f32 v3, v11, 0xbf3504f3, v19
	v_dual_fmamk_f32 v0, v7, 0x3f3504f3, v16 :: v_dual_sub_f32 v5, v13, v5
	s_delay_alu instid0(VALU_DEP_4) | instskip(NEXT) | instid1(VALU_DEP_4)
	v_dual_fmac_f32 v1, 0xbf3504f3, v7 :: v_dual_sub_f32 v6, v12, v6
	v_sub_f32_e32 v7, v14, v15
	s_delay_alu instid0(VALU_DEP_4)
	v_fmac_f32_e32 v2, 0x3f3504f3, v11
	v_dual_fmac_f32 v3, 0xbf3504f3, v9 :: v_dual_add_f32 v4, v10, v4
	v_fmac_f32_e32 v0, 0x3f3504f3, v8
	v_fma_f32 v9, v13, 2.0, -v5
	v_fma_f32 v12, v12, 2.0, -v6
	v_fma_f32 v13, v14, 2.0, -v7
	v_fma_f32 v14, v18, 2.0, -v2
	v_fma_f32 v15, v19, 2.0, -v3
	v_fma_f32 v8, v10, 2.0, -v4
	v_fma_f32 v10, v16, 2.0, -v0
	v_fma_f32 v11, v17, 2.0, -v1
	ds_store_2addr_stride64_b64 v46, v[6:7], v[2:3] offset0:4 offset1:5
	ds_store_2addr_stride64_b64 v46, v[4:5], v[0:1] offset0:6 offset1:7
	ds_store_2addr_stride64_b64 v46, v[12:13], v[14:15] offset1:1
	ds_store_2addr_stride64_b64 v46, v[8:9], v[10:11] offset0:2 offset1:3
	global_wb scope:SCOPE_SE
	s_wait_dscnt 0x0
	s_barrier_signal -1
	s_barrier_wait -1
	global_inv scope:SCOPE_SE
	ds_load_2addr_stride64_b64 v[0:3], v46 offset1:1
	ds_load_2addr_stride64_b64 v[4:7], v46 offset0:2 offset1:3
	ds_load_2addr_stride64_b64 v[8:11], v46 offset0:4 offset1:5
	ds_load_2addr_stride64_b64 v[12:15], v46 offset0:6 offset1:7
	v_add_co_u32 v51, vcc_lo, v41, s0
	s_wait_alu 0xfffd
	v_add_co_ci_u32_e32 v52, vcc_lo, s1, v42, vcc_lo
	s_delay_alu instid0(VALU_DEP_2) | instskip(SKIP_1) | instid1(VALU_DEP_2)
	v_add_co_u32 v53, vcc_lo, v51, s0
	s_wait_alu 0xfffd
	v_add_co_ci_u32_e32 v54, vcc_lo, s1, v52, vcc_lo
	s_delay_alu instid0(VALU_DEP_2) | instskip(SKIP_1) | instid1(VALU_DEP_2)
	;; [unrolled: 4-line block ×3, first 2 shown]
	v_add_co_u32 v18, vcc_lo, v16, s0
	s_wait_alu 0xfffd
	v_add_co_ci_u32_e32 v19, vcc_lo, s1, v17, vcc_lo
	s_wait_dscnt 0x1
	v_mul_f32_e32 v49, v36, v11
	v_mul_f32_e32 v36, v36, v10
	s_wait_dscnt 0x0
	v_mul_f32_e32 v50, v38, v13
	v_dual_mul_f32 v38, v38, v12 :: v_dual_mul_f32 v55, v40, v15
	v_mul_f32_e32 v40, v40, v14
	v_fma_f32 v11, v35, v11, -v36
	v_mul_f32_e32 v24, v26, v1
	s_delay_alu instid0(VALU_DEP_4)
	v_fma_f32 v13, v37, v13, -v38
	v_dual_mul_f32 v26, v26, v0 :: v_dual_mul_f32 v45, v28, v3
	v_fma_f32 v15, v39, v15, -v40
	v_mul_f32_e32 v28, v28, v2
	v_mul_f32_e32 v46, v30, v5
	;; [unrolled: 1-line block ×3, first 2 shown]
	v_add_co_u32 v20, vcc_lo, v18, s0
	v_mul_f32_e32 v15, 0x3b000000, v15
	v_mul_f32_e32 v47, v32, v7
	;; [unrolled: 1-line block ×5, first 2 shown]
	s_wait_alu 0xfffd
	v_add_co_ci_u32_e32 v21, vcc_lo, s1, v19, vcc_lo
	v_dual_mul_f32 v11, 0x3b000000, v11 :: v_dual_fmac_f32 v24, v25, v0
	v_mul_f32_e32 v13, 0x3b000000, v13
	v_fma_f32 v1, v25, v1, -v26
	v_fmac_f32_e32 v45, v27, v2
	v_fma_f32 v3, v27, v3, -v28
	v_fmac_f32_e32 v46, v29, v4
	v_fma_f32 v5, v29, v5, -v30
	v_add_co_u32 v22, vcc_lo, v20, s0
	v_fmac_f32_e32 v47, v31, v6
	v_fma_f32 v7, v31, v7, -v32
	v_fmac_f32_e32 v48, v33, v8
	v_fma_f32 v9, v33, v9, -v34
	s_wait_alu 0xfffd
	v_add_co_ci_u32_e32 v23, vcc_lo, s1, v21, vcc_lo
	v_dual_fmac_f32 v49, v35, v10 :: v_dual_fmac_f32 v50, v37, v12
	v_dual_fmac_f32 v55, v39, v14 :: v_dual_mul_f32 v0, 0x3b000000, v24
	v_mul_f32_e32 v1, 0x3b000000, v1
	v_dual_mul_f32 v2, 0x3b000000, v45 :: v_dual_mul_f32 v3, 0x3b000000, v3
	v_dual_mul_f32 v4, 0x3b000000, v46 :: v_dual_mul_f32 v5, 0x3b000000, v5
	v_add_co_u32 v43, vcc_lo, v22, s0
	v_mul_f32_e32 v6, 0x3b000000, v47
	v_dual_mul_f32 v7, 0x3b000000, v7 :: v_dual_mul_f32 v8, 0x3b000000, v48
	v_mul_f32_e32 v9, 0x3b000000, v9
	s_wait_alu 0xfffd
	v_add_co_ci_u32_e32 v44, vcc_lo, s1, v23, vcc_lo
	v_mul_f32_e32 v10, 0x3b000000, v49
	v_mul_f32_e32 v12, 0x3b000000, v50
	;; [unrolled: 1-line block ×3, first 2 shown]
	s_clause 0x4
	global_store_b64 v[41:42], v[0:1], off
	global_store_b64 v[51:52], v[2:3], off
	;; [unrolled: 1-line block ×8, first 2 shown]
.LBB0_2:
	s_nop 0
	s_sendmsg sendmsg(MSG_DEALLOC_VGPRS)
	s_endpgm
	.section	.rodata,"a",@progbits
	.p2align	6, 0x0
	.amdhsa_kernel bluestein_single_fwd_len512_dim1_sp_op_CI_CI
		.amdhsa_group_segment_fixed_size 4096
		.amdhsa_private_segment_fixed_size 0
		.amdhsa_kernarg_size 104
		.amdhsa_user_sgpr_count 2
		.amdhsa_user_sgpr_dispatch_ptr 0
		.amdhsa_user_sgpr_queue_ptr 0
		.amdhsa_user_sgpr_kernarg_segment_ptr 1
		.amdhsa_user_sgpr_dispatch_id 0
		.amdhsa_user_sgpr_private_segment_size 0
		.amdhsa_wavefront_size32 1
		.amdhsa_uses_dynamic_stack 0
		.amdhsa_enable_private_segment 0
		.amdhsa_system_sgpr_workgroup_id_x 1
		.amdhsa_system_sgpr_workgroup_id_y 0
		.amdhsa_system_sgpr_workgroup_id_z 0
		.amdhsa_system_sgpr_workgroup_info 0
		.amdhsa_system_vgpr_workitem_id 0
		.amdhsa_next_free_vgpr 87
		.amdhsa_next_free_sgpr 20
		.amdhsa_reserve_vcc 1
		.amdhsa_float_round_mode_32 0
		.amdhsa_float_round_mode_16_64 0
		.amdhsa_float_denorm_mode_32 3
		.amdhsa_float_denorm_mode_16_64 3
		.amdhsa_fp16_overflow 0
		.amdhsa_workgroup_processor_mode 1
		.amdhsa_memory_ordered 1
		.amdhsa_forward_progress 0
		.amdhsa_round_robin_scheduling 0
		.amdhsa_exception_fp_ieee_invalid_op 0
		.amdhsa_exception_fp_denorm_src 0
		.amdhsa_exception_fp_ieee_div_zero 0
		.amdhsa_exception_fp_ieee_overflow 0
		.amdhsa_exception_fp_ieee_underflow 0
		.amdhsa_exception_fp_ieee_inexact 0
		.amdhsa_exception_int_div_zero 0
	.end_amdhsa_kernel
	.text
.Lfunc_end0:
	.size	bluestein_single_fwd_len512_dim1_sp_op_CI_CI, .Lfunc_end0-bluestein_single_fwd_len512_dim1_sp_op_CI_CI
                                        ; -- End function
	.section	.AMDGPU.csdata,"",@progbits
; Kernel info:
; codeLenInByte = 5436
; NumSgprs: 22
; NumVgprs: 87
; ScratchSize: 0
; MemoryBound: 0
; FloatMode: 240
; IeeeMode: 1
; LDSByteSize: 4096 bytes/workgroup (compile time only)
; SGPRBlocks: 2
; VGPRBlocks: 10
; NumSGPRsForWavesPerEU: 22
; NumVGPRsForWavesPerEU: 87
; Occupancy: 16
; WaveLimiterHint : 1
; COMPUTE_PGM_RSRC2:SCRATCH_EN: 0
; COMPUTE_PGM_RSRC2:USER_SGPR: 2
; COMPUTE_PGM_RSRC2:TRAP_HANDLER: 0
; COMPUTE_PGM_RSRC2:TGID_X_EN: 1
; COMPUTE_PGM_RSRC2:TGID_Y_EN: 0
; COMPUTE_PGM_RSRC2:TGID_Z_EN: 0
; COMPUTE_PGM_RSRC2:TIDIG_COMP_CNT: 0
	.text
	.p2alignl 7, 3214868480
	.fill 96, 4, 3214868480
	.type	__hip_cuid_7facd768a1fb9554,@object ; @__hip_cuid_7facd768a1fb9554
	.section	.bss,"aw",@nobits
	.globl	__hip_cuid_7facd768a1fb9554
__hip_cuid_7facd768a1fb9554:
	.byte	0                               ; 0x0
	.size	__hip_cuid_7facd768a1fb9554, 1

	.ident	"AMD clang version 19.0.0git (https://github.com/RadeonOpenCompute/llvm-project roc-6.4.0 25133 c7fe45cf4b819c5991fe208aaa96edf142730f1d)"
	.section	".note.GNU-stack","",@progbits
	.addrsig
	.addrsig_sym __hip_cuid_7facd768a1fb9554
	.amdgpu_metadata
---
amdhsa.kernels:
  - .args:
      - .actual_access:  read_only
        .address_space:  global
        .offset:         0
        .size:           8
        .value_kind:     global_buffer
      - .actual_access:  read_only
        .address_space:  global
        .offset:         8
        .size:           8
        .value_kind:     global_buffer
      - .actual_access:  read_only
        .address_space:  global
        .offset:         16
        .size:           8
        .value_kind:     global_buffer
      - .actual_access:  read_only
        .address_space:  global
        .offset:         24
        .size:           8
        .value_kind:     global_buffer
      - .actual_access:  read_only
        .address_space:  global
        .offset:         32
        .size:           8
        .value_kind:     global_buffer
      - .offset:         40
        .size:           8
        .value_kind:     by_value
      - .address_space:  global
        .offset:         48
        .size:           8
        .value_kind:     global_buffer
      - .address_space:  global
        .offset:         56
        .size:           8
        .value_kind:     global_buffer
      - .address_space:  global
        .offset:         64
        .size:           8
        .value_kind:     global_buffer
      - .address_space:  global
        .offset:         72
        .size:           8
        .value_kind:     global_buffer
      - .offset:         80
        .size:           4
        .value_kind:     by_value
      - .address_space:  global
        .offset:         88
        .size:           8
        .value_kind:     global_buffer
      - .address_space:  global
        .offset:         96
        .size:           8
        .value_kind:     global_buffer
    .group_segment_fixed_size: 4096
    .kernarg_segment_align: 8
    .kernarg_segment_size: 104
    .language:       OpenCL C
    .language_version:
      - 2
      - 0
    .max_flat_workgroup_size: 64
    .name:           bluestein_single_fwd_len512_dim1_sp_op_CI_CI
    .private_segment_fixed_size: 0
    .sgpr_count:     22
    .sgpr_spill_count: 0
    .symbol:         bluestein_single_fwd_len512_dim1_sp_op_CI_CI.kd
    .uniform_work_group_size: 1
    .uses_dynamic_stack: false
    .vgpr_count:     87
    .vgpr_spill_count: 0
    .wavefront_size: 32
    .workgroup_processor_mode: 1
amdhsa.target:   amdgcn-amd-amdhsa--gfx1201
amdhsa.version:
  - 1
  - 2
...

	.end_amdgpu_metadata
